;; amdgpu-corpus repo=pytorch/pytorch kind=compiled arch=gfx906 opt=O3
	.amdgcn_target "amdgcn-amd-amdhsa--gfx906"
	.amdhsa_code_object_version 6
	.text
	.protected	_ZN2at6native25weight_int8pack_mm_kernelEPKfPKaS2_Pfiii ; -- Begin function _ZN2at6native25weight_int8pack_mm_kernelEPKfPKaS2_Pfiii
	.globl	_ZN2at6native25weight_int8pack_mm_kernelEPKfPKaS2_Pfiii
	.p2align	8
	.type	_ZN2at6native25weight_int8pack_mm_kernelEPKfPKaS2_Pfiii,@function
_ZN2at6native25weight_int8pack_mm_kernelEPKfPKaS2_Pfiii: ; @_ZN2at6native25weight_int8pack_mm_kernelEPKfPKaS2_Pfiii
; %bb.0:
	s_load_dword s0, s[4:5], 0x3c
	s_load_dwordx4 s[16:19], s[4:5], 0x20
	s_waitcnt lgkmcnt(0)
	s_lshr_b32 s1, s0, 16
	s_and_b32 s0, s0, 0xffff
	s_mul_i32 s7, s7, s1
	s_mul_i32 s6, s6, s0
	v_add_u32_e32 v5, s7, v1
	v_add_u32_e32 v0, s6, v0
	v_cmp_gt_i32_e32 vcc, s16, v5
	v_cmp_gt_i32_e64 s[0:1], s18, v0
	s_and_b64 s[0:1], vcc, s[0:1]
	s_and_saveexec_b64 s[2:3], s[0:1]
	s_cbranch_execz .LBB0_6
; %bb.1:
	s_load_dwordx8 s[8:15], s[4:5], 0x0
	s_cmp_lt_i32 s17, 1
	s_cbranch_scc1 .LBB0_4
; %bb.2:
	v_mul_lo_u32 v1, v0, s17
	v_mul_lo_u32 v3, v5, s17
	s_waitcnt lgkmcnt(0)
	v_mov_b32_e32 v2, s11
	v_mov_b32_e32 v6, s9
	v_ashrrev_i32_e32 v4, 31, v1
	v_add_co_u32_e32 v1, vcc, s10, v1
	v_addc_co_u32_e32 v2, vcc, v2, v4, vcc
	v_ashrrev_i32_e32 v4, 31, v3
	v_lshlrev_b64 v[3:4], 2, v[3:4]
	v_add_co_u32_e32 v3, vcc, s8, v3
	v_addc_co_u32_e32 v4, vcc, v6, v4, vcc
	v_mov_b32_e32 v6, 0
.LBB0_3:                                ; =>This Inner Loop Header: Depth=1
	global_load_sbyte v7, v[1:2], off
	global_load_dword v8, v[3:4], off
	v_add_co_u32_e32 v1, vcc, 1, v1
	v_addc_co_u32_e32 v2, vcc, 0, v2, vcc
	s_add_i32 s17, s17, -1
	v_add_co_u32_e32 v3, vcc, 4, v3
	v_addc_co_u32_e32 v4, vcc, 0, v4, vcc
	s_cmp_eq_u32 s17, 0
	s_waitcnt vmcnt(1)
	v_cvt_f32_i32_e32 v7, v7
	s_waitcnt vmcnt(0)
	v_fmac_f32_e32 v6, v8, v7
	s_cbranch_scc0 .LBB0_3
	s_branch .LBB0_5
.LBB0_4:
	v_mov_b32_e32 v6, 0
.LBB0_5:
	v_ashrrev_i32_e32 v1, 31, v0
	v_lshlrev_b64 v[1:2], 2, v[0:1]
	s_waitcnt lgkmcnt(0)
	v_mov_b32_e32 v3, s13
	v_add_co_u32_e32 v1, vcc, s12, v1
	v_addc_co_u32_e32 v2, vcc, v3, v2, vcc
	global_load_dword v2, v[1:2], off
	v_mad_u64_u32 v[0:1], s[0:1], v5, s18, v[0:1]
	v_mov_b32_e32 v3, s15
	v_ashrrev_i32_e32 v1, 31, v0
	v_lshlrev_b64 v[0:1], 2, v[0:1]
	v_add_co_u32_e32 v0, vcc, s14, v0
	v_addc_co_u32_e32 v1, vcc, v3, v1, vcc
	s_waitcnt vmcnt(0)
	v_mul_f32_e32 v2, v6, v2
	global_store_dword v[0:1], v2, off
.LBB0_6:
	s_endpgm
	.section	.rodata,"a",@progbits
	.p2align	6, 0x0
	.amdhsa_kernel _ZN2at6native25weight_int8pack_mm_kernelEPKfPKaS2_Pfiii
		.amdhsa_group_segment_fixed_size 0
		.amdhsa_private_segment_fixed_size 0
		.amdhsa_kernarg_size 304
		.amdhsa_user_sgpr_count 6
		.amdhsa_user_sgpr_private_segment_buffer 1
		.amdhsa_user_sgpr_dispatch_ptr 0
		.amdhsa_user_sgpr_queue_ptr 0
		.amdhsa_user_sgpr_kernarg_segment_ptr 1
		.amdhsa_user_sgpr_dispatch_id 0
		.amdhsa_user_sgpr_flat_scratch_init 0
		.amdhsa_user_sgpr_private_segment_size 0
		.amdhsa_uses_dynamic_stack 0
		.amdhsa_system_sgpr_private_segment_wavefront_offset 0
		.amdhsa_system_sgpr_workgroup_id_x 1
		.amdhsa_system_sgpr_workgroup_id_y 1
		.amdhsa_system_sgpr_workgroup_id_z 0
		.amdhsa_system_sgpr_workgroup_info 0
		.amdhsa_system_vgpr_workitem_id 1
		.amdhsa_next_free_vgpr 9
		.amdhsa_next_free_sgpr 20
		.amdhsa_reserve_vcc 1
		.amdhsa_reserve_flat_scratch 0
		.amdhsa_float_round_mode_32 0
		.amdhsa_float_round_mode_16_64 0
		.amdhsa_float_denorm_mode_32 3
		.amdhsa_float_denorm_mode_16_64 3
		.amdhsa_dx10_clamp 1
		.amdhsa_ieee_mode 1
		.amdhsa_fp16_overflow 0
		.amdhsa_exception_fp_ieee_invalid_op 0
		.amdhsa_exception_fp_denorm_src 0
		.amdhsa_exception_fp_ieee_div_zero 0
		.amdhsa_exception_fp_ieee_overflow 0
		.amdhsa_exception_fp_ieee_underflow 0
		.amdhsa_exception_fp_ieee_inexact 0
		.amdhsa_exception_int_div_zero 0
	.end_amdhsa_kernel
	.text
.Lfunc_end0:
	.size	_ZN2at6native25weight_int8pack_mm_kernelEPKfPKaS2_Pfiii, .Lfunc_end0-_ZN2at6native25weight_int8pack_mm_kernelEPKfPKaS2_Pfiii
                                        ; -- End function
	.set _ZN2at6native25weight_int8pack_mm_kernelEPKfPKaS2_Pfiii.num_vgpr, 9
	.set _ZN2at6native25weight_int8pack_mm_kernelEPKfPKaS2_Pfiii.num_agpr, 0
	.set _ZN2at6native25weight_int8pack_mm_kernelEPKfPKaS2_Pfiii.numbered_sgpr, 20
	.set _ZN2at6native25weight_int8pack_mm_kernelEPKfPKaS2_Pfiii.num_named_barrier, 0
	.set _ZN2at6native25weight_int8pack_mm_kernelEPKfPKaS2_Pfiii.private_seg_size, 0
	.set _ZN2at6native25weight_int8pack_mm_kernelEPKfPKaS2_Pfiii.uses_vcc, 1
	.set _ZN2at6native25weight_int8pack_mm_kernelEPKfPKaS2_Pfiii.uses_flat_scratch, 0
	.set _ZN2at6native25weight_int8pack_mm_kernelEPKfPKaS2_Pfiii.has_dyn_sized_stack, 0
	.set _ZN2at6native25weight_int8pack_mm_kernelEPKfPKaS2_Pfiii.has_recursion, 0
	.set _ZN2at6native25weight_int8pack_mm_kernelEPKfPKaS2_Pfiii.has_indirect_call, 0
	.section	.AMDGPU.csdata,"",@progbits
; Kernel info:
; codeLenInByte = 308
; TotalNumSgprs: 24
; NumVgprs: 9
; ScratchSize: 0
; MemoryBound: 0
; FloatMode: 240
; IeeeMode: 1
; LDSByteSize: 0 bytes/workgroup (compile time only)
; SGPRBlocks: 2
; VGPRBlocks: 2
; NumSGPRsForWavesPerEU: 24
; NumVGPRsForWavesPerEU: 9
; Occupancy: 10
; WaveLimiterHint : 0
; COMPUTE_PGM_RSRC2:SCRATCH_EN: 0
; COMPUTE_PGM_RSRC2:USER_SGPR: 6
; COMPUTE_PGM_RSRC2:TRAP_HANDLER: 0
; COMPUTE_PGM_RSRC2:TGID_X_EN: 1
; COMPUTE_PGM_RSRC2:TGID_Y_EN: 1
; COMPUTE_PGM_RSRC2:TGID_Z_EN: 0
; COMPUTE_PGM_RSRC2:TIDIG_COMP_CNT: 1
	.section	.AMDGPU.gpr_maximums,"",@progbits
	.set amdgpu.max_num_vgpr, 0
	.set amdgpu.max_num_agpr, 0
	.set amdgpu.max_num_sgpr, 0
	.section	.AMDGPU.csdata,"",@progbits
	.type	__hip_cuid_4535a08b3e22ac41,@object ; @__hip_cuid_4535a08b3e22ac41
	.section	.bss,"aw",@nobits
	.globl	__hip_cuid_4535a08b3e22ac41
__hip_cuid_4535a08b3e22ac41:
	.byte	0                               ; 0x0
	.size	__hip_cuid_4535a08b3e22ac41, 1

	.ident	"AMD clang version 22.0.0git (https://github.com/RadeonOpenCompute/llvm-project roc-7.2.4 26084 f58b06dce1f9c15707c5f808fd002e18c2accf7e)"
	.section	".note.GNU-stack","",@progbits
	.addrsig
	.addrsig_sym __hip_cuid_4535a08b3e22ac41
	.amdgpu_metadata
---
amdhsa.kernels:
  - .args:
      - .address_space:  global
        .offset:         0
        .size:           8
        .value_kind:     global_buffer
      - .address_space:  global
        .offset:         8
        .size:           8
        .value_kind:     global_buffer
      - .address_space:  global
        .offset:         16
        .size:           8
        .value_kind:     global_buffer
      - .address_space:  global
        .offset:         24
        .size:           8
        .value_kind:     global_buffer
      - .offset:         32
        .size:           4
        .value_kind:     by_value
      - .offset:         36
        .size:           4
        .value_kind:     by_value
      - .offset:         40
        .size:           4
        .value_kind:     by_value
      - .offset:         48
        .size:           4
        .value_kind:     hidden_block_count_x
      - .offset:         52
        .size:           4
        .value_kind:     hidden_block_count_y
      - .offset:         56
        .size:           4
        .value_kind:     hidden_block_count_z
      - .offset:         60
        .size:           2
        .value_kind:     hidden_group_size_x
      - .offset:         62
        .size:           2
        .value_kind:     hidden_group_size_y
      - .offset:         64
        .size:           2
        .value_kind:     hidden_group_size_z
      - .offset:         66
        .size:           2
        .value_kind:     hidden_remainder_x
      - .offset:         68
        .size:           2
        .value_kind:     hidden_remainder_y
      - .offset:         70
        .size:           2
        .value_kind:     hidden_remainder_z
      - .offset:         88
        .size:           8
        .value_kind:     hidden_global_offset_x
      - .offset:         96
        .size:           8
        .value_kind:     hidden_global_offset_y
      - .offset:         104
        .size:           8
        .value_kind:     hidden_global_offset_z
      - .offset:         112
        .size:           2
        .value_kind:     hidden_grid_dims
    .group_segment_fixed_size: 0
    .kernarg_segment_align: 8
    .kernarg_segment_size: 304
    .language:       OpenCL C
    .language_version:
      - 2
      - 0
    .max_flat_workgroup_size: 1024
    .name:           _ZN2at6native25weight_int8pack_mm_kernelEPKfPKaS2_Pfiii
    .private_segment_fixed_size: 0
    .sgpr_count:     24
    .sgpr_spill_count: 0
    .symbol:         _ZN2at6native25weight_int8pack_mm_kernelEPKfPKaS2_Pfiii.kd
    .uniform_work_group_size: 1
    .uses_dynamic_stack: false
    .vgpr_count:     9
    .vgpr_spill_count: 0
    .wavefront_size: 64
amdhsa.target:   amdgcn-amd-amdhsa--gfx906
amdhsa.version:
  - 1
  - 2
...

	.end_amdgpu_metadata
